;; amdgpu-corpus repo=ROCm/rocFFT kind=compiled arch=gfx1201 opt=O3
	.text
	.amdgcn_target "amdgcn-amd-amdhsa--gfx1201"
	.amdhsa_code_object_version 6
	.protected	fft_rtc_back_len108_factors_6_6_3_wgs_576_tpt_36_half_op_CI_CI_sbcc_twdbase5_3step ; -- Begin function fft_rtc_back_len108_factors_6_6_3_wgs_576_tpt_36_half_op_CI_CI_sbcc_twdbase5_3step
	.globl	fft_rtc_back_len108_factors_6_6_3_wgs_576_tpt_36_half_op_CI_CI_sbcc_twdbase5_3step
	.p2align	8
	.type	fft_rtc_back_len108_factors_6_6_3_wgs_576_tpt_36_half_op_CI_CI_sbcc_twdbase5_3step,@function
fft_rtc_back_len108_factors_6_6_3_wgs_576_tpt_36_half_op_CI_CI_sbcc_twdbase5_3step: ; @fft_rtc_back_len108_factors_6_6_3_wgs_576_tpt_36_half_op_CI_CI_sbcc_twdbase5_3step
; %bb.0:
	s_clause 0x1
	s_load_b256 s[4:11], s[0:1], 0x8
	s_load_b64 s[26:27], s[0:1], 0x28
	s_mov_b32 s2, ttmp9
	s_mov_b32 s3, exec_lo
	v_cmpx_gt_u32_e32 0x60, v0
	s_cbranch_execz .LBB0_2
; %bb.1:
	v_lshlrev_b32_e32 v1, 2, v0
	s_wait_kmcnt 0x0
	global_load_b32 v2, v1, s[4:5]
	v_add_nc_u32_e32 v1, 0, v1
	s_wait_loadcnt 0x0
	ds_store_b32 v1, v2 offset:6912
.LBB0_2:
	s_or_b32 exec_lo, exec_lo, s3
	s_wait_kmcnt 0x0
	s_load_b64 s[28:29], s[8:9], 0x8
	s_mov_b32 s3, 0
	s_mov_b64 s[20:21], 0
	s_wait_kmcnt 0x0
	s_add_nc_u64 s[4:5], s[28:29], -1
	s_delay_alu instid0(SALU_CYCLE_1) | instskip(NEXT) | instid1(SALU_CYCLE_1)
	s_lshr_b64 s[4:5], s[4:5], 4
	s_add_nc_u64 s[34:35], s[4:5], 1
	s_delay_alu instid0(SALU_CYCLE_1) | instskip(NEXT) | instid1(VALU_DEP_1)
	v_cmp_lt_u64_e64 s4, s[2:3], s[34:35]
	s_and_b32 vcc_lo, exec_lo, s4
	s_cbranch_vccnz .LBB0_4
; %bb.3:
	v_cvt_f32_u32_e32 v1, s34
	s_sub_co_i32 s5, 0, s34
	s_mov_b32 s21, s3
	s_delay_alu instid0(VALU_DEP_1) | instskip(NEXT) | instid1(TRANS32_DEP_1)
	v_rcp_iflag_f32_e32 v1, v1
	v_mul_f32_e32 v1, 0x4f7ffffe, v1
	s_delay_alu instid0(VALU_DEP_1) | instskip(NEXT) | instid1(VALU_DEP_1)
	v_cvt_u32_f32_e32 v1, v1
	v_readfirstlane_b32 s4, v1
	s_delay_alu instid0(VALU_DEP_1) | instskip(NEXT) | instid1(SALU_CYCLE_1)
	s_mul_i32 s5, s5, s4
	s_mul_hi_u32 s5, s4, s5
	s_delay_alu instid0(SALU_CYCLE_1) | instskip(NEXT) | instid1(SALU_CYCLE_1)
	s_add_co_i32 s4, s4, s5
	s_mul_hi_u32 s4, s2, s4
	s_delay_alu instid0(SALU_CYCLE_1) | instskip(SKIP_2) | instid1(SALU_CYCLE_1)
	s_mul_i32 s5, s4, s34
	s_add_co_i32 s12, s4, 1
	s_sub_co_i32 s5, s2, s5
	s_sub_co_i32 s13, s5, s34
	s_cmp_ge_u32 s5, s34
	s_cselect_b32 s4, s12, s4
	s_cselect_b32 s5, s13, s5
	s_add_co_i32 s12, s4, 1
	s_cmp_ge_u32 s5, s34
	s_cselect_b32 s20, s12, s4
.LBB0_4:
	s_load_b128 s[16:19], s[10:11], 0x0
	s_load_b128 s[12:15], s[26:27], 0x0
	s_load_b64 s[24:25], s[0:1], 0x0
	v_cmp_lt_u64_e64 s30, s[6:7], 3
	s_mul_u64 s[4:5], s[20:21], s[34:35]
	s_delay_alu instid0(SALU_CYCLE_1) | instskip(NEXT) | instid1(SALU_CYCLE_1)
	s_sub_nc_u64 s[4:5], s[2:3], s[4:5]
	s_lshl_b64 s[22:23], s[4:5], 4
	s_delay_alu instid0(VALU_DEP_1)
	s_and_b32 vcc_lo, exec_lo, s30
	s_wait_kmcnt 0x0
	s_mul_u64 s[30:31], s[18:19], s[22:23]
	s_mul_u64 s[4:5], s[14:15], s[22:23]
	s_cbranch_vccnz .LBB0_14
; %bb.5:
	s_add_nc_u64 s[36:37], s[26:27], 16
	s_add_nc_u64 s[38:39], s[10:11], 16
	;; [unrolled: 1-line block ×3, first 2 shown]
	s_mov_b64 s[40:41], 2
	s_mov_b32 s42, 0
.LBB0_6:                                ; =>This Inner Loop Header: Depth=1
	s_load_b64 s[44:45], s[8:9], 0x0
                                        ; implicit-def: $sgpr48_sgpr49
	s_wait_kmcnt 0x0
	s_or_b64 s[46:47], s[20:21], s[44:45]
	s_delay_alu instid0(SALU_CYCLE_1)
	s_mov_b32 s43, s47
	s_mov_b32 s47, -1
	s_cmp_lg_u64 s[42:43], 0
	s_cbranch_scc0 .LBB0_8
; %bb.7:                                ;   in Loop: Header=BB0_6 Depth=1
	s_cvt_f32_u32 s33, s44
	s_cvt_f32_u32 s43, s45
	s_sub_nc_u64 s[50:51], 0, s[44:45]
	s_mov_b32 s47, 0
	s_mov_b32 s55, s42
	s_wait_alu 0xfffe
	s_fmamk_f32 s33, s43, 0x4f800000, s33
	s_wait_alu 0xfffe
	s_delay_alu instid0(SALU_CYCLE_2) | instskip(NEXT) | instid1(TRANS32_DEP_1)
	v_s_rcp_f32 s33, s33
	s_mul_f32 s33, s33, 0x5f7ffffc
	s_wait_alu 0xfffe
	s_delay_alu instid0(SALU_CYCLE_2) | instskip(NEXT) | instid1(SALU_CYCLE_3)
	s_mul_f32 s43, s33, 0x2f800000
	s_trunc_f32 s43, s43
	s_delay_alu instid0(SALU_CYCLE_3) | instskip(SKIP_2) | instid1(SALU_CYCLE_1)
	s_fmamk_f32 s33, s43, 0xcf800000, s33
	s_cvt_u32_f32 s49, s43
	s_wait_alu 0xfffe
	s_cvt_u32_f32 s48, s33
	s_wait_alu 0xfffe
	s_delay_alu instid0(SALU_CYCLE_2)
	s_mul_u64 s[52:53], s[50:51], s[48:49]
	s_wait_alu 0xfffe
	s_mul_hi_u32 s57, s48, s53
	s_mul_i32 s56, s48, s53
	s_mul_hi_u32 s46, s48, s52
	s_mul_i32 s43, s49, s52
	s_add_nc_u64 s[56:57], s[46:47], s[56:57]
	s_mul_hi_u32 s33, s49, s52
	s_mul_hi_u32 s58, s49, s53
	s_add_co_u32 s43, s56, s43
	s_wait_alu 0xfffe
	s_add_co_ci_u32 s54, s57, s33
	s_mul_i32 s52, s49, s53
	s_add_co_ci_u32 s53, s58, 0
	s_wait_alu 0xfffe
	s_add_nc_u64 s[52:53], s[54:55], s[52:53]
	s_wait_alu 0xfffe
	v_add_co_u32 v1, s33, s48, s52
	s_delay_alu instid0(VALU_DEP_1) | instskip(SKIP_1) | instid1(VALU_DEP_1)
	s_cmp_lg_u32 s33, 0
	s_add_co_ci_u32 s49, s49, s53
	v_readfirstlane_b32 s48, v1
	s_mov_b32 s53, s42
	s_wait_alu 0xfffe
	s_delay_alu instid0(VALU_DEP_1)
	s_mul_u64 s[50:51], s[50:51], s[48:49]
	s_wait_alu 0xfffe
	s_mul_hi_u32 s55, s48, s51
	s_mul_i32 s54, s48, s51
	s_mul_hi_u32 s46, s48, s50
	s_mul_i32 s43, s49, s50
	s_add_nc_u64 s[54:55], s[46:47], s[54:55]
	s_mul_hi_u32 s33, s49, s50
	s_mul_hi_u32 s48, s49, s51
	s_add_co_u32 s43, s54, s43
	s_wait_alu 0xfffe
	s_add_co_ci_u32 s52, s55, s33
	s_mul_i32 s50, s49, s51
	s_add_co_ci_u32 s51, s48, 0
	s_wait_alu 0xfffe
	s_add_nc_u64 s[50:51], s[52:53], s[50:51]
	s_wait_alu 0xfffe
	v_add_co_u32 v1, s33, v1, s50
	s_delay_alu instid0(VALU_DEP_1) | instskip(SKIP_1) | instid1(VALU_DEP_1)
	s_cmp_lg_u32 s33, 0
	s_add_co_ci_u32 s33, s49, s51
	v_readfirstlane_b32 s43, v1
	s_wait_alu 0xfffe
	s_mul_hi_u32 s49, s20, s33
	s_mul_i32 s48, s20, s33
	s_mul_hi_u32 s51, s21, s33
	s_mul_i32 s50, s21, s33
	;; [unrolled: 2-line block ×3, first 2 shown]
	s_wait_alu 0xfffe
	s_add_nc_u64 s[48:49], s[46:47], s[48:49]
	s_mul_hi_u32 s43, s21, s43
	s_wait_alu 0xfffe
	s_add_co_u32 s33, s48, s33
	s_add_co_ci_u32 s52, s49, s43
	s_add_co_ci_u32 s51, s51, 0
	s_wait_alu 0xfffe
	s_add_nc_u64 s[48:49], s[52:53], s[50:51]
	s_wait_alu 0xfffe
	s_mul_u64 s[50:51], s[44:45], s[48:49]
	s_add_nc_u64 s[52:53], s[48:49], 1
	s_wait_alu 0xfffe
	v_sub_co_u32 v1, s33, s20, s50
	s_sub_co_i32 s43, s21, s51
	s_cmp_lg_u32 s33, 0
	s_add_nc_u64 s[54:55], s[48:49], 2
	s_delay_alu instid0(VALU_DEP_1) | instskip(SKIP_2) | instid1(VALU_DEP_1)
	v_sub_co_u32 v2, s46, v1, s44
	s_sub_co_ci_u32 s43, s43, s45
	s_cmp_lg_u32 s46, 0
	v_readfirstlane_b32 s46, v2
	s_sub_co_ci_u32 s43, s43, 0
	s_delay_alu instid0(SALU_CYCLE_1) | instskip(SKIP_1) | instid1(VALU_DEP_1)
	s_cmp_ge_u32 s43, s45
	s_cselect_b32 s50, -1, 0
	s_cmp_ge_u32 s46, s44
	s_cselect_b32 s46, -1, 0
	s_cmp_eq_u32 s43, s45
	s_wait_alu 0xfffe
	s_cselect_b32 s43, s46, s50
	s_delay_alu instid0(SALU_CYCLE_1)
	s_cmp_lg_u32 s43, 0
	s_cselect_b32 s43, s54, s52
	s_cselect_b32 s46, s55, s53
	s_cmp_lg_u32 s33, 0
	v_readfirstlane_b32 s33, v1
	s_sub_co_ci_u32 s50, s21, s51
	s_wait_alu 0xfffe
	s_cmp_ge_u32 s50, s45
	s_cselect_b32 s51, -1, 0
	s_cmp_ge_u32 s33, s44
	s_cselect_b32 s33, -1, 0
	s_cmp_eq_u32 s50, s45
	s_wait_alu 0xfffe
	s_cselect_b32 s33, s33, s51
	s_wait_alu 0xfffe
	s_cmp_lg_u32 s33, 0
	s_cselect_b32 s49, s46, s49
	s_cselect_b32 s48, s43, s48
.LBB0_8:                                ;   in Loop: Header=BB0_6 Depth=1
	s_and_not1_b32 vcc_lo, exec_lo, s47
	s_cbranch_vccnz .LBB0_10
; %bb.9:                                ;   in Loop: Header=BB0_6 Depth=1
	v_cvt_f32_u32_e32 v1, s44
	s_sub_co_i32 s43, 0, s44
	s_mov_b32 s49, s42
	s_delay_alu instid0(VALU_DEP_1) | instskip(NEXT) | instid1(TRANS32_DEP_1)
	v_rcp_iflag_f32_e32 v1, v1
	v_mul_f32_e32 v1, 0x4f7ffffe, v1
	s_delay_alu instid0(VALU_DEP_1) | instskip(NEXT) | instid1(VALU_DEP_1)
	v_cvt_u32_f32_e32 v1, v1
	v_readfirstlane_b32 s33, v1
	s_delay_alu instid0(VALU_DEP_1) | instskip(NEXT) | instid1(SALU_CYCLE_1)
	s_mul_i32 s43, s43, s33
	s_mul_hi_u32 s43, s33, s43
	s_delay_alu instid0(SALU_CYCLE_1)
	s_add_co_i32 s33, s33, s43
	s_wait_alu 0xfffe
	s_mul_hi_u32 s33, s20, s33
	s_wait_alu 0xfffe
	s_mul_i32 s43, s33, s44
	s_add_co_i32 s46, s33, 1
	s_sub_co_i32 s43, s20, s43
	s_delay_alu instid0(SALU_CYCLE_1)
	s_sub_co_i32 s47, s43, s44
	s_cmp_ge_u32 s43, s44
	s_cselect_b32 s33, s46, s33
	s_cselect_b32 s43, s47, s43
	s_wait_alu 0xfffe
	s_add_co_i32 s46, s33, 1
	s_cmp_ge_u32 s43, s44
	s_cselect_b32 s48, s46, s33
.LBB0_10:                               ;   in Loop: Header=BB0_6 Depth=1
	s_load_b64 s[46:47], s[38:39], 0x0
	s_load_b64 s[50:51], s[36:37], 0x0
	s_add_nc_u64 s[40:41], s[40:41], 1
	s_mul_u64 s[34:35], s[44:45], s[34:35]
	s_wait_alu 0xfffe
	v_cmp_ge_u64_e64 s33, s[40:41], s[6:7]
	s_mul_u64 s[44:45], s[48:49], s[44:45]
	s_add_nc_u64 s[36:37], s[36:37], 8
	s_wait_alu 0xfffe
	s_sub_nc_u64 s[20:21], s[20:21], s[44:45]
	s_add_nc_u64 s[38:39], s[38:39], 8
	s_add_nc_u64 s[8:9], s[8:9], 8
	s_and_b32 vcc_lo, exec_lo, s33
	s_wait_kmcnt 0x0
	s_wait_alu 0xfffe
	s_mul_u64 s[44:45], s[46:47], s[20:21]
	s_mul_u64 s[20:21], s[50:51], s[20:21]
	s_wait_alu 0xfffe
	s_add_nc_u64 s[30:31], s[44:45], s[30:31]
	s_add_nc_u64 s[4:5], s[20:21], s[4:5]
	s_cbranch_vccnz .LBB0_12
; %bb.11:                               ;   in Loop: Header=BB0_6 Depth=1
	s_mov_b64 s[20:21], s[48:49]
	s_branch .LBB0_6
.LBB0_12:
	v_cmp_lt_u64_e64 s3, s[2:3], s[34:35]
	s_mov_b64 s[20:21], 0
	s_delay_alu instid0(VALU_DEP_1)
	s_and_b32 vcc_lo, exec_lo, s3
	s_cbranch_vccnz .LBB0_14
; %bb.13:
	v_cvt_f32_u32_e32 v1, s34
	s_sub_co_i32 s8, 0, s34
	s_mov_b32 s21, 0
	s_delay_alu instid0(VALU_DEP_1) | instskip(NEXT) | instid1(TRANS32_DEP_1)
	v_rcp_iflag_f32_e32 v1, v1
	v_mul_f32_e32 v1, 0x4f7ffffe, v1
	s_delay_alu instid0(VALU_DEP_1) | instskip(NEXT) | instid1(VALU_DEP_1)
	v_cvt_u32_f32_e32 v1, v1
	v_readfirstlane_b32 s3, v1
	s_delay_alu instid0(VALU_DEP_1) | instskip(NEXT) | instid1(SALU_CYCLE_1)
	s_mul_i32 s8, s8, s3
	s_mul_hi_u32 s8, s3, s8
	s_delay_alu instid0(SALU_CYCLE_1) | instskip(SKIP_4) | instid1(SALU_CYCLE_1)
	s_add_co_i32 s3, s3, s8
	s_wait_alu 0xfffe
	s_mul_hi_u32 s3, s2, s3
	s_wait_alu 0xfffe
	s_mul_i32 s8, s3, s34
	s_sub_co_i32 s2, s2, s8
	s_add_co_i32 s8, s3, 1
	s_wait_alu 0xfffe
	s_sub_co_i32 s9, s2, s34
	s_cmp_ge_u32 s2, s34
	s_cselect_b32 s3, s8, s3
	s_cselect_b32 s2, s9, s2
	s_wait_alu 0xfffe
	s_add_co_i32 s8, s3, 1
	s_cmp_ge_u32 s2, s34
	s_cselect_b32 s20, s8, s3
.LBB0_14:
	s_load_b128 s[0:3], s[0:1], 0x60
	v_and_b32_e32 v6, 15, v0
	v_lshrrev_b32_e32 v7, 4, v0
	v_mov_b32_e32 v2, s23
	s_add_nc_u64 s[8:9], s[22:23], 16
	s_lshl_b64 s[6:7], s[6:7], 3
	v_or_b32_e32 v1, s22, v6
	v_lshlrev_b32_e32 v9, 2, v7
	v_cmp_le_u64_e64 s8, s[8:9], s[28:29]
	v_mul_u32_u24_e32 v8, 0x1b0, v6
	v_add_nc_u32_e32 v5, 36, v7
	v_cmp_gt_u64_e32 vcc_lo, s[28:29], v[1:2]
	v_add_nc_u32_e32 v4, 0x48, v7
	s_or_b32 s8, s8, vcc_lo
	s_wait_alu 0xfffe
	s_and_saveexec_b32 s9, s8
	s_cbranch_execz .LBB0_16
; %bb.15:
	v_mad_co_u64_u32 v[10:11], null, s16, v7, 0
	v_mad_co_u64_u32 v[1:2], null, s18, v6, 0
	s_add_nc_u64 s[10:11], s[10:11], s[6:7]
	v_mad_co_u64_u32 v[12:13], null, s16, v5, 0
	s_load_b64 s[10:11], s[10:11], 0x0
	s_delay_alu instid0(VALU_DEP_3) | instskip(SKIP_1) | instid1(VALU_DEP_2)
	v_mov_b32_e32 v3, v11
	v_mad_co_u64_u32 v[14:15], null, s16, v4, 0
	v_mad_co_u64_u32 v[16:17], null, s19, v6, v[2:3]
	s_lshl_b64 s[18:19], s[30:31], 2
	s_delay_alu instid0(VALU_DEP_1) | instskip(SKIP_3) | instid1(VALU_DEP_4)
	v_mov_b32_e32 v2, v16
	v_mad_co_u64_u32 v[17:18], null, s17, v7, v[3:4]
	v_mov_b32_e32 v3, v13
	v_mov_b32_e32 v13, v15
	v_lshlrev_b64_e32 v[1:2], 2, v[1:2]
	s_wait_kmcnt 0x0
	s_mul_u64 s[10:11], s[10:11], s[20:21]
	v_mad_co_u64_u32 v[15:16], null, s17, v5, v[3:4]
	v_mov_b32_e32 v11, v17
	v_mad_co_u64_u32 v[16:17], null, s17, v4, v[13:14]
	s_lshl_b64 s[10:11], s[10:11], 2
	s_delay_alu instid0(SALU_CYCLE_1) | instskip(NEXT) | instid1(VALU_DEP_3)
	s_add_nc_u64 s[0:1], s[0:1], s[10:11]
	v_mov_b32_e32 v13, v15
	s_wait_alu 0xfffe
	s_add_nc_u64 s[0:1], s[0:1], s[18:19]
	v_lshlrev_b64_e32 v[10:11], 2, v[10:11]
	v_add_co_u32 v3, vcc_lo, s0, v1
	v_mov_b32_e32 v15, v16
	v_add_co_ci_u32_e32 v17, vcc_lo, s1, v2, vcc_lo
	v_lshlrev_b64_e32 v[1:2], 2, v[12:13]
	s_delay_alu instid0(VALU_DEP_4) | instskip(NEXT) | instid1(VALU_DEP_4)
	v_add_co_u32 v10, vcc_lo, v3, v10
	v_lshlrev_b64_e32 v[12:13], 2, v[14:15]
	s_wait_alu 0xfffd
	v_add_co_ci_u32_e32 v11, vcc_lo, v17, v11, vcc_lo
	s_delay_alu instid0(VALU_DEP_4)
	v_add_co_u32 v1, vcc_lo, v3, v1
	s_wait_alu 0xfffd
	v_add_co_ci_u32_e32 v2, vcc_lo, v17, v2, vcc_lo
	v_add_co_u32 v12, vcc_lo, v3, v12
	s_wait_alu 0xfffd
	v_add_co_ci_u32_e32 v13, vcc_lo, v17, v13, vcc_lo
	s_clause 0x2
	global_load_b32 v3, v[10:11], off
	global_load_b32 v1, v[1:2], off
	;; [unrolled: 1-line block ×3, first 2 shown]
	v_add3_u32 v10, 0, v8, v9
	s_wait_loadcnt 0x1
	ds_store_2addr_b32 v10, v3, v1 offset1:36
	s_wait_loadcnt 0x0
	ds_store_b32 v10, v2 offset:288
.LBB0_16:
	s_wait_alu 0xfffe
	s_or_b32 exec_lo, exec_lo, s9
	v_mul_hi_u32 v12, 0x71c71c8, v0
	global_wb scope:SCOPE_SE
	s_wait_dscnt 0x0
	s_wait_kmcnt 0x0
	s_barrier_signal -1
	s_barrier_wait -1
	global_inv scope:SCOPE_SE
	v_mul_u32_u24_e32 v1, 36, v12
	v_and_b32_e32 v2, 15, v12
	s_delay_alu instid0(VALU_DEP_2) | instskip(NEXT) | instid1(VALU_DEP_2)
	v_sub_nc_u32_e32 v13, v0, v1
	v_mul_u32_u24_e32 v0, 0x6c, v2
	s_delay_alu instid0(VALU_DEP_2) | instskip(NEXT) | instid1(VALU_DEP_2)
	v_lshlrev_b32_e32 v1, 2, v13
	v_lshlrev_b32_e32 v15, 2, v0
	v_cmp_gt_u32_e32 vcc_lo, 18, v13
	s_delay_alu instid0(VALU_DEP_3) | instskip(NEXT) | instid1(VALU_DEP_3)
	v_add_nc_u32_e32 v3, 0, v1
	v_add3_u32 v11, 0, v15, v1
	s_delay_alu instid0(VALU_DEP_2)
	v_add_nc_u32_e32 v10, v3, v15
	ds_load_2addr_b32 v[0:1], v10 offset0:18 offset1:36
	ds_load_b32 v2, v11
	ds_load_2addr_b32 v[16:17], v10 offset0:54 offset1:72
	ds_load_b32 v14, v10 offset:360
	global_wb scope:SCOPE_SE
	s_wait_dscnt 0x0
	s_barrier_signal -1
	s_barrier_wait -1
	global_inv scope:SCOPE_SE
	v_pk_add_f16 v18, v2, v1
	v_pk_add_f16 v19, v0, v16
	;; [unrolled: 1-line block ×4, first 2 shown]
	v_pk_add_f16 v16, v16, v14 neg_lo:[0,1] neg_hi:[0,1]
	v_pk_add_f16 v1, v1, v17 neg_lo:[0,1] neg_hi:[0,1]
	v_pk_add_f16 v17, v18, v17
	v_pk_fma_f16 v0, v21, 0.5, v0 op_sel_hi:[1,0,1] neg_lo:[1,0,0] neg_hi:[1,0,0]
	v_pk_add_f16 v18, v19, v14
	v_pk_fma_f16 v2, v20, 0.5, v2 op_sel_hi:[1,0,1] neg_lo:[1,0,0] neg_hi:[1,0,0]
	s_delay_alu instid0(VALU_DEP_3) | instskip(SKIP_1) | instid1(VALU_DEP_4)
	v_pk_fma_f16 v19, 0x3aee, v16, v0 op_sel:[0,0,1] op_sel_hi:[0,1,0] neg_lo:[0,1,0] neg_hi:[0,1,0]
	v_pk_fma_f16 v16, 0x3aee, v16, v0 op_sel:[0,0,1] op_sel_hi:[0,1,0]
	v_pk_add_f16 v14, v17, v18
	s_delay_alu instid0(VALU_DEP_4)
	v_pk_fma_f16 v20, 0x3aee, v1, v2 op_sel:[0,0,1] op_sel_hi:[0,1,0] neg_lo:[0,1,0] neg_hi:[0,1,0]
	v_pk_fma_f16 v1, 0x3aee, v1, v2 op_sel:[0,0,1] op_sel_hi:[0,1,0]
	v_pk_add_f16 v0, v17, v18 neg_lo:[0,1] neg_hi:[0,1]
	v_lshrrev_b32_e32 v2, 16, v19
	v_pk_mul_f16 v17, 0x3aee, v19 op_sel_hi:[0,1]
	v_mul_f16_e32 v18, 0x3aee, v16
	v_lshrrev_b32_e32 v21, 16, v16
	v_mul_f16_e32 v19, -0.5, v19
	v_lshrrev_b32_e32 v22, 16, v20
	v_pk_fma_f16 v23, 0xb8003800, v16, v17 op_sel:[0,0,1] op_sel_hi:[1,1,0]
	v_pk_fma_f16 v16, 0xb8003800, v16, v17 op_sel:[0,0,1] op_sel_hi:[1,1,0] neg_lo:[0,0,1] neg_hi:[0,0,1]
	v_fma_f16 v2, v2, 0.5, -v18
	v_fmac_f16_e32 v19, 0x3aee, v21
	v_alignbit_b32 v17, v1, v20, 16
	v_alignbit_b32 v21, v20, v1, 16
	v_bfi_b32 v24, 0xffff, v23, v16
	v_pack_b32_f16 v23, v2, v23
	v_alignbit_b32 v25, v19, v16, 16
	v_add_f16_e32 v2, v22, v2
	v_add_f16_e32 v18, v20, v19
	v_pk_add_f16 v16, v1, v24
	v_pk_add_f16 v1, v17, v23 neg_lo:[0,1] neg_hi:[0,1]
	v_pk_add_f16 v17, v21, v25 neg_lo:[0,1] neg_hi:[0,1]
	s_and_saveexec_b32 s0, vcc_lo
	s_cbranch_execz .LBB0_18
; %bb.17:
	v_mul_i32_i24_e32 v19, 20, v13
	v_perm_b32 v20, v16, v2, 0x5040100
	v_alignbit_b32 v21, v18, v16, 16
	s_delay_alu instid0(VALU_DEP_3)
	v_add3_u32 v3, v3, v19, v15
	ds_store_2addr_b32 v3, v20, v21 offset0:1 offset1:2
	ds_store_2addr_b32 v3, v0, v1 offset0:3 offset1:4
	ds_store_2addr_b32 v3, v14, v17 offset1:5
.LBB0_18:
	s_wait_alu 0xfffe
	s_or_b32 exec_lo, exec_lo, s0
	v_lshrrev_b32_e32 v19, 16, v14
	v_lshrrev_b32_e32 v3, 16, v16
	v_lshrrev_b32_e32 v20, 16, v0
	v_lshrrev_b32_e32 v22, 16, v1
	v_lshrrev_b32_e32 v21, 16, v17
	global_wb scope:SCOPE_SE
	s_wait_dscnt 0x0
	s_barrier_signal -1
	s_barrier_wait -1
	global_inv scope:SCOPE_SE
	s_and_saveexec_b32 s0, vcc_lo
	s_cbranch_execz .LBB0_20
; %bb.19:
	ds_load_2addr_b32 v[2:3], v10 offset0:18 offset1:36
	ds_load_2addr_b32 v[0:1], v10 offset0:54 offset1:72
	ds_load_b32 v17, v10 offset:360
	ds_load_b32 v14, v11
	s_wait_dscnt 0x3
	v_lshrrev_b32_e32 v16, 16, v2
	v_lshrrev_b32_e32 v18, 16, v3
	s_wait_dscnt 0x2
	v_lshrrev_b32_e32 v20, 16, v0
	v_lshrrev_b32_e32 v22, 16, v1
	s_wait_dscnt 0x1
	v_lshrrev_b32_e32 v21, 16, v17
	s_wait_dscnt 0x0
	v_lshrrev_b32_e32 v19, 16, v14
.LBB0_20:
	s_wait_alu 0xfffe
	s_or_b32 exec_lo, exec_lo, s0
	s_add_nc_u64 s[0:1], s[26:27], s[6:7]
	global_wb scope:SCOPE_SE
	s_barrier_signal -1
	s_barrier_wait -1
	global_inv scope:SCOPE_SE
	s_and_saveexec_b32 s6, vcc_lo
	s_cbranch_execz .LBB0_22
; %bb.21:
	v_and_b32_e32 v23, 0xff, v13
	s_delay_alu instid0(VALU_DEP_1) | instskip(NEXT) | instid1(VALU_DEP_1)
	v_mul_lo_u16 v23, 0xab, v23
	v_lshrrev_b16 v27, 10, v23
	s_delay_alu instid0(VALU_DEP_1) | instskip(SKIP_1) | instid1(VALU_DEP_2)
	v_mul_lo_u16 v23, v27, 6
	v_mul_lo_u16 v27, v27, 36
	v_sub_nc_u16 v23, v13, v23
	s_delay_alu instid0(VALU_DEP_2) | instskip(NEXT) | instid1(VALU_DEP_2)
	v_and_b32_e32 v27, 0xfc, v27
	v_and_b32_e32 v28, 0xff, v23
	s_delay_alu instid0(VALU_DEP_2) | instskip(NEXT) | instid1(VALU_DEP_2)
	v_lshlrev_b32_e32 v27, 2, v27
	v_mul_u32_u24_e32 v23, 5, v28
	v_lshl_add_u32 v28, v28, 2, 0
	s_delay_alu instid0(VALU_DEP_2) | instskip(NEXT) | instid1(VALU_DEP_2)
	v_lshlrev_b32_e32 v29, 2, v23
	v_add3_u32 v15, v28, v27, v15
	s_clause 0x1
	global_load_b128 v[23:26], v29, s[24:25]
	global_load_b32 v29, v29, s[24:25] offset:16
	s_wait_loadcnt 0x1
	v_lshrrev_b32_e32 v28, 16, v26
	v_lshrrev_b32_e32 v31, 16, v25
	s_wait_loadcnt 0x0
	v_lshrrev_b32_e32 v32, 16, v29
	v_lshrrev_b32_e32 v27, 16, v24
	;; [unrolled: 1-line block ×3, first 2 shown]
	v_mul_f16_e32 v34, v1, v28
	v_mul_f16_e32 v28, v22, v28
	;; [unrolled: 1-line block ×10, first 2 shown]
	v_fmac_f16_e32 v28, v1, v26
	v_fmac_f16_e32 v36, v0, v25
	v_fma_f16 v0, v20, v25, -v31
	v_fma_f16 v1, v21, v29, -v32
	;; [unrolled: 1-line block ×4, first 2 shown]
	v_fmac_f16_e32 v27, v3, v24
	v_fmac_f16_e32 v35, v2, v23
	;; [unrolled: 1-line block ×3, first 2 shown]
	v_fma_f16 v2, v16, v23, -v30
	v_add_f16_e32 v21, v0, v1
	v_add_f16_e32 v3, v18, v22
	v_sub_f16_e32 v20, v0, v1
	v_add_f16_e32 v17, v36, v37
	v_sub_f16_e32 v23, v36, v37
	v_add_f16_e32 v24, v19, v18
	v_add_f16_e32 v0, v2, v0
	v_add_f16_e32 v25, v27, v28
	v_fma_f16 v2, -0.5, v21, v2
	v_sub_f16_e32 v16, v27, v28
	v_add_f16_e32 v26, v14, v27
	v_add_f16_e32 v27, v35, v36
	v_fma_f16 v3, -0.5, v3, v19
	v_fma_f16 v17, -0.5, v17, v35
	v_add_f16_e32 v19, v24, v22
	v_add_f16_e32 v0, v0, v1
	v_fma_f16 v1, -0.5, v25, v14
	v_fmamk_f16 v25, v23, 0xbaee, v2
	v_fmac_f16_e32 v2, 0x3aee, v23
	v_sub_f16_e32 v18, v18, v22
	v_add_f16_e32 v14, v26, v28
	v_add_f16_e32 v21, v27, v37
	v_fmamk_f16 v22, v16, 0xbaee, v3
	v_fmamk_f16 v24, v20, 0x3aee, v17
	v_fmac_f16_e32 v3, 0x3aee, v16
	v_fmac_f16_e32 v17, 0xbaee, v20
	v_sub_f16_e32 v16, v19, v0
	v_add_f16_e32 v0, v19, v0
	v_mul_f16_e32 v19, -0.5, v25
	v_mul_f16_e32 v23, 0.5, v2
	v_mul_f16_e32 v2, 0xbaee, v2
	v_fmamk_f16 v20, v18, 0x3aee, v1
	v_fmac_f16_e32 v1, 0xbaee, v18
	v_sub_f16_e32 v18, v14, v21
	v_add_f16_e32 v14, v14, v21
	v_mul_f16_e32 v21, 0xbaee, v25
	v_fmac_f16_e32 v19, 0x3aee, v24
	v_fmac_f16_e32 v23, 0x3aee, v17
	v_fmac_f16_e32 v2, 0.5, v17
	v_pack_b32_f16 v0, v14, v0
	v_fmac_f16_e32 v21, -0.5, v24
	v_sub_f16_e32 v14, v22, v19
	v_sub_f16_e32 v17, v3, v23
	v_add_f16_e32 v19, v22, v19
	v_add_f16_e32 v3, v3, v23
	;; [unrolled: 1-line block ×4, first 2 shown]
	v_sub_f16_e32 v1, v1, v2
	v_sub_f16_e32 v2, v20, v21
	v_pack_b32_f16 v16, v18, v16
	v_pack_b32_f16 v3, v22, v3
	;; [unrolled: 1-line block ×5, first 2 shown]
	ds_store_2addr_b32 v15, v0, v3 offset1:6
	ds_store_2addr_b32 v15, v18, v16 offset0:12 offset1:18
	ds_store_2addr_b32 v15, v1, v2 offset0:24 offset1:30
.LBB0_22:
	s_wait_alu 0xfffe
	s_or_b32 exec_lo, exec_lo, s6
	v_dual_mov_b32 v1, 0 :: v_dual_lshlrev_b32 v0, 1, v13
	s_load_b64 s[0:1], s[0:1], 0x0
	global_wb scope:SCOPE_SE
	s_wait_dscnt 0x0
	s_wait_kmcnt 0x0
	s_barrier_signal -1
	s_barrier_wait -1
	v_lshlrev_b64_e32 v[0:1], 2, v[0:1]
	global_inv scope:SCOPE_SE
	v_add_nc_u32_e32 v2, s22, v12
	s_add_co_i32 s6, 0, 0x1b00
	v_add_co_u32 v0, vcc_lo, s24, v0
	s_wait_alu 0xfffd
	v_add_co_ci_u32_e32 v1, vcc_lo, s25, v1, vcc_lo
	v_mul_lo_u32 v12, v2, v13
	v_mul_lo_u32 v13, v2, 36
	global_load_b64 v[0:1], v[0:1], off offset:120
	ds_load_b32 v11, v11
	ds_load_2addr_b32 v[2:3], v10 offset0:36 offset1:72
	v_and_b32_e32 v14, 31, v12
	v_lshrrev_b32_e32 v15, 3, v12
	v_lshrrev_b32_e32 v16, 8, v12
	v_add_nc_u32_e32 v12, v12, v13
	s_delay_alu instid0(VALU_DEP_4) | instskip(NEXT) | instid1(VALU_DEP_4)
	v_lshl_add_u32 v14, v14, 2, 0
	v_and_b32_e32 v15, 0x7c, v15
	s_delay_alu instid0(VALU_DEP_4) | instskip(NEXT) | instid1(VALU_DEP_4)
	v_and_b32_e32 v16, 0x7c, v16
	v_and_b32_e32 v17, 31, v12
	v_lshrrev_b32_e32 v18, 3, v12
	v_lshrrev_b32_e32 v19, 8, v12
	v_add_nc_u32_e32 v12, v12, v13
	s_wait_alu 0xfffe
	v_add_nc_u32_e32 v13, s6, v15
	v_add_nc_u32_e32 v15, s6, v16
	v_lshl_add_u32 v16, v17, 2, 0
	v_and_b32_e32 v17, 0x7c, v18
	v_lshrrev_b32_e32 v20, 3, v12
	v_and_b32_e32 v18, 0x7c, v19
	v_and_b32_e32 v19, 31, v12
	v_lshrrev_b32_e32 v12, 8, v12
	ds_load_b32 v14, v14 offset:6912
	ds_load_b32 v13, v13 offset:128
	v_and_b32_e32 v20, 0x7c, v20
	v_add_nc_u32_e32 v17, s6, v17
	v_add_nc_u32_e32 v18, s6, v18
	v_and_b32_e32 v12, 0x7c, v12
	v_lshl_add_u32 v19, v19, 2, 0
	ds_load_b32 v15, v15 offset:256
	ds_load_b32 v16, v16 offset:6912
	v_add_nc_u32_e32 v20, s6, v20
	ds_load_b32 v17, v17 offset:128
	ds_load_b32 v18, v18 offset:256
	;; [unrolled: 1-line block ×3, first 2 shown]
	v_add_nc_u32_e32 v12, s6, v12
	ds_load_b32 v20, v20 offset:128
	ds_load_b32 v12, v12 offset:256
	s_wait_dscnt 0x9
	v_lshrrev_b32_e32 v21, 16, v2
	v_lshrrev_b32_e32 v24, 16, v3
	;; [unrolled: 1-line block ×3, first 2 shown]
	global_wb scope:SCOPE_SE
	s_wait_loadcnt_dscnt 0x0
	s_barrier_signal -1
	v_lshrrev_b32_e32 v22, 16, v14
	v_lshrrev_b32_e32 v23, 16, v13
	s_barrier_wait -1
	global_inv scope:SCOPE_SE
	v_mul_f16_e32 v28, v22, v23
	v_lshrrev_b32_e32 v27, 16, v16
	v_mul_f16_e32 v23, v14, v23
	v_lshrrev_b32_e32 v29, 16, v17
	v_lshrrev_b32_e32 v26, 16, v15
	;; [unrolled: 1-line block ×3, first 2 shown]
	v_fma_f16 v14, v14, v13, -v28
	v_fmac_f16_e32 v23, v22, v13
	v_mul_f16_e32 v13, v27, v29
	v_mul_f16_e32 v22, v16, v29
	v_lshrrev_b32_e32 v28, 16, v20
	v_lshrrev_b32_e32 v30, 16, v18
	v_mul_f16_e32 v32, v23, v26
	v_mul_f16_e32 v26, v14, v26
	v_fma_f16 v13, v16, v17, -v13
	v_fmac_f16_e32 v22, v27, v17
	v_mul_f16_e32 v16, v31, v28
	v_mul_f16_e32 v17, v19, v28
	v_fma_f16 v14, v15, v14, -v32
	v_fmac_f16_e32 v26, v15, v23
	;; [unrolled: 4-line block ×3, first 2 shown]
	v_lshrrev_b32_e32 v29, 16, v12
	v_fma_f16 v13, v18, v13, -v15
	v_fmac_f16_e32 v23, v18, v22
	s_delay_alu instid0(VALU_DEP_3) | instskip(SKIP_1) | instid1(VALU_DEP_1)
	v_mul_f16_e32 v15, v17, v29
	v_mul_f16_e32 v27, v16, v29
	v_fmac_f16_e32 v27, v12, v17
	v_lshrrev_b32_e32 v19, 16, v0
	v_lshrrev_b32_e32 v20, 16, v1
	s_delay_alu instid0(VALU_DEP_2) | instskip(NEXT) | instid1(VALU_DEP_2)
	v_mul_f16_e32 v18, v19, v21
	v_mul_f16_e32 v22, v20, v24
	;; [unrolled: 1-line block ×4, first 2 shown]
	s_delay_alu instid0(VALU_DEP_4) | instskip(NEXT) | instid1(VALU_DEP_4)
	v_fmac_f16_e32 v18, v0, v2
	v_fmac_f16_e32 v22, v1, v3
	s_delay_alu instid0(VALU_DEP_4) | instskip(NEXT) | instid1(VALU_DEP_4)
	v_fma_f16 v0, v0, v21, -v19
	v_fma_f16 v1, v1, v24, -v20
	;; [unrolled: 1-line block ×3, first 2 shown]
	v_add_f16_e32 v3, v18, v11
	v_add_f16_e32 v15, v18, v22
	v_add_f16_e32 v16, v0, v25
	v_add_f16_e32 v19, v0, v1
	v_sub_f16_e32 v0, v0, v1
	v_sub_f16_e32 v18, v18, v22
	v_fma_f16 v11, -0.5, v15, v11
	v_add_f16_e32 v1, v16, v1
	v_fmac_f16_e32 v25, -0.5, v19
	v_add_f16_e32 v3, v3, v22
	s_delay_alu instid0(VALU_DEP_4) | instskip(NEXT) | instid1(VALU_DEP_4)
	v_fmamk_f16 v12, v0, 0xbaee, v11
	v_mul_f16_e32 v15, v1, v26
	s_delay_alu instid0(VALU_DEP_4)
	v_fmamk_f16 v16, v18, 0x3aee, v25
	v_fmac_f16_e32 v11, 0x3aee, v0
	v_fmac_f16_e32 v25, 0xbaee, v18
	v_mul_f16_e32 v0, v3, v26
	v_fmac_f16_e32 v15, v3, v14
	v_mul_f16_e32 v3, v16, v23
	v_mul_f16_e32 v17, v12, v23
	;; [unrolled: 1-line block ×4, first 2 shown]
	v_fma_f16 v0, v1, v14, -v0
	v_fmac_f16_e32 v3, v12, v13
	v_fma_f16 v1, v16, v13, -v17
	v_fmac_f16_e32 v18, v11, v2
	v_fma_f16 v2, v25, v2, -v19
	v_pack_b32_f16 v0, v15, v0
	s_delay_alu instid0(VALU_DEP_4) | instskip(NEXT) | instid1(VALU_DEP_3)
	v_pack_b32_f16 v1, v3, v1
	v_pack_b32_f16 v2, v18, v2
	ds_store_2addr_b32 v10, v0, v1 offset1:36
	ds_store_b32 v10, v2 offset:288
	global_wb scope:SCOPE_SE
	s_wait_dscnt 0x0
	s_barrier_signal -1
	s_barrier_wait -1
	global_inv scope:SCOPE_SE
	s_and_saveexec_b32 s6, s8
	s_cbranch_execz .LBB0_24
; %bb.23:
	v_mad_co_u64_u32 v[0:1], null, s14, v6, 0
	v_mad_co_u64_u32 v[2:3], null, s12, v7, 0
	v_add3_u32 v15, 0, v8, v9
	v_mad_co_u64_u32 v[8:9], null, s12, v5, 0
	s_mul_u64 s[0:1], s[0:1], s[20:21]
	s_wait_alu 0xfffe
	s_lshl_b64 s[0:1], s[0:1], 2
	s_delay_alu instid0(VALU_DEP_3) | instskip(NEXT) | instid1(VALU_DEP_4)
	v_mad_co_u64_u32 v[10:11], null, s15, v6, v[1:2]
	v_mad_co_u64_u32 v[6:7], null, s13, v7, v[3:4]
	v_mad_co_u64_u32 v[11:12], null, s12, v4, 0
	s_delay_alu instid0(VALU_DEP_4)
	v_mov_b32_e32 v7, v9
	s_wait_alu 0xfffe
	s_add_nc_u64 s[0:1], s[2:3], s[0:1]
	ds_load_2addr_b32 v[13:14], v15 offset1:36
	s_lshl_b64 s[2:3], s[4:5], 2
	v_mov_b32_e32 v3, v6
	v_mad_co_u64_u32 v[5:6], null, s13, v5, v[7:8]
	v_mov_b32_e32 v6, v12
	s_wait_alu 0xfffe
	s_add_nc_u64 s[0:1], s[0:1], s[2:3]
	ds_load_b32 v15, v15 offset:288
	v_lshlrev_b64_e32 v[2:3], 2, v[2:3]
	v_mad_co_u64_u32 v[6:7], null, s13, v4, v[6:7]
	v_mov_b32_e32 v1, v10
	s_delay_alu instid0(VALU_DEP_2) | instskip(NEXT) | instid1(VALU_DEP_2)
	v_dual_mov_b32 v9, v5 :: v_dual_mov_b32 v12, v6
	v_lshlrev_b64_e32 v[0:1], 2, v[0:1]
	s_delay_alu instid0(VALU_DEP_2) | instskip(SKIP_1) | instid1(VALU_DEP_2)
	v_lshlrev_b64_e32 v[4:5], 2, v[11:12]
	s_wait_alu 0xfffe
	v_add_co_u32 v7, vcc_lo, s0, v0
	s_wait_alu 0xfffd
	s_delay_alu instid0(VALU_DEP_3) | instskip(SKIP_1) | instid1(VALU_DEP_3)
	v_add_co_ci_u32_e32 v10, vcc_lo, s1, v1, vcc_lo
	v_lshlrev_b64_e32 v[0:1], 2, v[8:9]
	v_add_co_u32 v2, vcc_lo, v7, v2
	s_wait_alu 0xfffd
	s_delay_alu instid0(VALU_DEP_3) | instskip(NEXT) | instid1(VALU_DEP_3)
	v_add_co_ci_u32_e32 v3, vcc_lo, v10, v3, vcc_lo
	v_add_co_u32 v0, vcc_lo, v7, v0
	s_wait_alu 0xfffd
	v_add_co_ci_u32_e32 v1, vcc_lo, v10, v1, vcc_lo
	v_add_co_u32 v4, vcc_lo, v7, v4
	s_wait_alu 0xfffd
	v_add_co_ci_u32_e32 v5, vcc_lo, v10, v5, vcc_lo
	s_wait_dscnt 0x1
	s_clause 0x1
	global_store_b32 v[2:3], v13, off
	global_store_b32 v[0:1], v14, off
	s_wait_dscnt 0x0
	global_store_b32 v[4:5], v15, off
.LBB0_24:
	s_nop 0
	s_sendmsg sendmsg(MSG_DEALLOC_VGPRS)
	s_endpgm
	.section	.rodata,"a",@progbits
	.p2align	6, 0x0
	.amdhsa_kernel fft_rtc_back_len108_factors_6_6_3_wgs_576_tpt_36_half_op_CI_CI_sbcc_twdbase5_3step
		.amdhsa_group_segment_fixed_size 0
		.amdhsa_private_segment_fixed_size 0
		.amdhsa_kernarg_size 112
		.amdhsa_user_sgpr_count 2
		.amdhsa_user_sgpr_dispatch_ptr 0
		.amdhsa_user_sgpr_queue_ptr 0
		.amdhsa_user_sgpr_kernarg_segment_ptr 1
		.amdhsa_user_sgpr_dispatch_id 0
		.amdhsa_user_sgpr_private_segment_size 0
		.amdhsa_wavefront_size32 1
		.amdhsa_uses_dynamic_stack 0
		.amdhsa_enable_private_segment 0
		.amdhsa_system_sgpr_workgroup_id_x 1
		.amdhsa_system_sgpr_workgroup_id_y 0
		.amdhsa_system_sgpr_workgroup_id_z 0
		.amdhsa_system_sgpr_workgroup_info 0
		.amdhsa_system_vgpr_workitem_id 0
		.amdhsa_next_free_vgpr 38
		.amdhsa_next_free_sgpr 59
		.amdhsa_reserve_vcc 1
		.amdhsa_float_round_mode_32 0
		.amdhsa_float_round_mode_16_64 0
		.amdhsa_float_denorm_mode_32 3
		.amdhsa_float_denorm_mode_16_64 3
		.amdhsa_fp16_overflow 0
		.amdhsa_workgroup_processor_mode 1
		.amdhsa_memory_ordered 1
		.amdhsa_forward_progress 0
		.amdhsa_round_robin_scheduling 0
		.amdhsa_exception_fp_ieee_invalid_op 0
		.amdhsa_exception_fp_denorm_src 0
		.amdhsa_exception_fp_ieee_div_zero 0
		.amdhsa_exception_fp_ieee_overflow 0
		.amdhsa_exception_fp_ieee_underflow 0
		.amdhsa_exception_fp_ieee_inexact 0
		.amdhsa_exception_int_div_zero 0
	.end_amdhsa_kernel
	.text
.Lfunc_end0:
	.size	fft_rtc_back_len108_factors_6_6_3_wgs_576_tpt_36_half_op_CI_CI_sbcc_twdbase5_3step, .Lfunc_end0-fft_rtc_back_len108_factors_6_6_3_wgs_576_tpt_36_half_op_CI_CI_sbcc_twdbase5_3step
                                        ; -- End function
	.section	.AMDGPU.csdata,"",@progbits
; Kernel info:
; codeLenInByte = 4216
; NumSgprs: 61
; NumVgprs: 38
; ScratchSize: 0
; MemoryBound: 0
; FloatMode: 240
; IeeeMode: 1
; LDSByteSize: 0 bytes/workgroup (compile time only)
; SGPRBlocks: 7
; VGPRBlocks: 4
; NumSGPRsForWavesPerEU: 61
; NumVGPRsForWavesPerEU: 38
; Occupancy: 14
; WaveLimiterHint : 1
; COMPUTE_PGM_RSRC2:SCRATCH_EN: 0
; COMPUTE_PGM_RSRC2:USER_SGPR: 2
; COMPUTE_PGM_RSRC2:TRAP_HANDLER: 0
; COMPUTE_PGM_RSRC2:TGID_X_EN: 1
; COMPUTE_PGM_RSRC2:TGID_Y_EN: 0
; COMPUTE_PGM_RSRC2:TGID_Z_EN: 0
; COMPUTE_PGM_RSRC2:TIDIG_COMP_CNT: 0
	.text
	.p2alignl 7, 3214868480
	.fill 96, 4, 3214868480
	.type	__hip_cuid_a7a1fe5afa4758f1,@object ; @__hip_cuid_a7a1fe5afa4758f1
	.section	.bss,"aw",@nobits
	.globl	__hip_cuid_a7a1fe5afa4758f1
__hip_cuid_a7a1fe5afa4758f1:
	.byte	0                               ; 0x0
	.size	__hip_cuid_a7a1fe5afa4758f1, 1

	.ident	"AMD clang version 19.0.0git (https://github.com/RadeonOpenCompute/llvm-project roc-6.4.0 25133 c7fe45cf4b819c5991fe208aaa96edf142730f1d)"
	.section	".note.GNU-stack","",@progbits
	.addrsig
	.addrsig_sym __hip_cuid_a7a1fe5afa4758f1
	.amdgpu_metadata
---
amdhsa.kernels:
  - .args:
      - .actual_access:  read_only
        .address_space:  global
        .offset:         0
        .size:           8
        .value_kind:     global_buffer
      - .address_space:  global
        .offset:         8
        .size:           8
        .value_kind:     global_buffer
      - .offset:         16
        .size:           8
        .value_kind:     by_value
      - .actual_access:  read_only
        .address_space:  global
        .offset:         24
        .size:           8
        .value_kind:     global_buffer
      - .actual_access:  read_only
        .address_space:  global
        .offset:         32
        .size:           8
        .value_kind:     global_buffer
      - .actual_access:  read_only
        .address_space:  global
        .offset:         40
        .size:           8
        .value_kind:     global_buffer
      - .offset:         48
        .size:           8
        .value_kind:     by_value
      - .actual_access:  read_only
        .address_space:  global
        .offset:         56
        .size:           8
        .value_kind:     global_buffer
      - .actual_access:  read_only
        .address_space:  global
        .offset:         64
        .size:           8
        .value_kind:     global_buffer
      - .offset:         72
        .size:           4
        .value_kind:     by_value
      - .actual_access:  read_only
        .address_space:  global
        .offset:         80
        .size:           8
        .value_kind:     global_buffer
      - .actual_access:  read_only
        .address_space:  global
        .offset:         88
        .size:           8
        .value_kind:     global_buffer
      - .actual_access:  read_only
        .address_space:  global
        .offset:         96
        .size:           8
        .value_kind:     global_buffer
      - .actual_access:  write_only
        .address_space:  global
        .offset:         104
        .size:           8
        .value_kind:     global_buffer
    .group_segment_fixed_size: 0
    .kernarg_segment_align: 8
    .kernarg_segment_size: 112
    .language:       OpenCL C
    .language_version:
      - 2
      - 0
    .max_flat_workgroup_size: 576
    .name:           fft_rtc_back_len108_factors_6_6_3_wgs_576_tpt_36_half_op_CI_CI_sbcc_twdbase5_3step
    .private_segment_fixed_size: 0
    .sgpr_count:     61
    .sgpr_spill_count: 0
    .symbol:         fft_rtc_back_len108_factors_6_6_3_wgs_576_tpt_36_half_op_CI_CI_sbcc_twdbase5_3step.kd
    .uniform_work_group_size: 1
    .uses_dynamic_stack: false
    .vgpr_count:     38
    .vgpr_spill_count: 0
    .wavefront_size: 32
    .workgroup_processor_mode: 1
amdhsa.target:   amdgcn-amd-amdhsa--gfx1201
amdhsa.version:
  - 1
  - 2
...

	.end_amdgpu_metadata
